;; amdgpu-corpus repo=ROCm/HIPIFY kind=compiled arch=gfx1250 opt=O3
	.amdgcn_target "amdgcn-amd-amdhsa--gfx1250"
	.amdhsa_code_object_version 6
	.text
	.protected	_Z3addPKvPK15graph_control_tPKfPf ; -- Begin function _Z3addPKvPK15graph_control_tPKfPf
	.globl	_Z3addPKvPK15graph_control_tPKfPf
	.p2align	8
	.type	_Z3addPKvPK15graph_control_tPKfPf,@function
_Z3addPKvPK15graph_control_tPKfPf:      ; @_Z3addPKvPK15graph_control_tPKfPf
; %bb.0:
	s_load_b256 s[4:11], s[0:1], 0x0
	v_mov_b32_e32 v7, 0
	s_wait_kmcnt 0x0
	s_load_b32 s0, s[4:5], 0x0
	s_wait_kmcnt 0x0
	s_ashr_i32 s1, s0, 31
	s_delay_alu instid0(SALU_CYCLE_1) | instskip(NEXT) | instid1(SALU_CYCLE_1)
	s_lshl_b64 s[0:1], s[0:1], 3
	s_add_nc_u64 s[0:1], s[6:7], s[0:1]
	s_load_b64 s[0:1], s[0:1], 0x0
	s_wait_kmcnt 0x0
	flat_load_b64 v[2:3], v7, s[0:1]
	s_wait_xcnt 0x0
	s_mov_b32 s0, exec_lo
	s_wait_loadcnt_dscnt 0x0
	v_cmpx_eq_u32_e64 v0, v2
	s_cbranch_execz .LBB0_3
; %bb.1:
	v_lshlrev_b32_e32 v6, 2, v0
	v_cvt_f32_u32_e32 v0, v0
	s_movk_i32 s0, 0x64
	s_delay_alu instid0(VALU_DEP_2)
	v_add_nc_u64_e32 v[4:5], s[8:9], v[6:7]
	v_add_nc_u64_e32 v[6:7], s[10:11], v[6:7]
.LBB0_2:                                ; =>This Inner Loop Header: Depth=1
	global_load_b32 v1, v[4:5], off
	s_sub_co_i32 s0, s0, 20
	s_delay_alu instid0(SALU_CYCLE_1) | instskip(SKIP_2) | instid1(VALU_DEP_1)
	s_cmp_lg_u32 s0, 0
	s_wait_loadcnt 0x0
	v_add_f32_e32 v1, v3, v1
	v_add_f32_e32 v1, v1, v0
	global_store_b32 v[6:7], v1, off
	global_load_b32 v1, v[4:5], off
	s_wait_loadcnt 0x0
	v_add_f32_e32 v1, v3, v1
	s_delay_alu instid0(VALU_DEP_1) | instskip(SKIP_4) | instid1(VALU_DEP_1)
	v_add_f32_e32 v1, v1, v0
	global_store_b32 v[6:7], v1, off
	global_load_b32 v1, v[4:5], off
	s_wait_loadcnt 0x0
	v_add_f32_e32 v1, v3, v1
	v_add_f32_e32 v1, v1, v0
	global_store_b32 v[6:7], v1, off
	global_load_b32 v1, v[4:5], off
	s_wait_loadcnt 0x0
	v_add_f32_e32 v1, v3, v1
	s_delay_alu instid0(VALU_DEP_1) | instskip(SKIP_4) | instid1(VALU_DEP_1)
	v_add_f32_e32 v1, v1, v0
	global_store_b32 v[6:7], v1, off
	global_load_b32 v1, v[4:5], off
	;; [unrolled: 11-line block ×9, first 2 shown]
	s_wait_loadcnt 0x0
	v_add_f32_e32 v1, v3, v1
	v_add_f32_e32 v1, v1, v0
	global_store_b32 v[6:7], v1, off
	global_load_b32 v1, v[4:5], off
	s_wait_loadcnt 0x0
	v_add_f32_e32 v1, v3, v1
	s_delay_alu instid0(VALU_DEP_1)
	v_add_f32_e32 v1, v1, v0
	global_store_b32 v[6:7], v1, off
	s_cbranch_scc1 .LBB0_2
.LBB0_3:
	s_endpgm
	.section	.rodata,"a",@progbits
	.p2align	6, 0x0
	.amdhsa_kernel _Z3addPKvPK15graph_control_tPKfPf
		.amdhsa_group_segment_fixed_size 0
		.amdhsa_private_segment_fixed_size 0
		.amdhsa_kernarg_size 32
		.amdhsa_user_sgpr_count 2
		.amdhsa_user_sgpr_dispatch_ptr 0
		.amdhsa_user_sgpr_queue_ptr 0
		.amdhsa_user_sgpr_kernarg_segment_ptr 1
		.amdhsa_user_sgpr_dispatch_id 0
		.amdhsa_user_sgpr_kernarg_preload_length 0
		.amdhsa_user_sgpr_kernarg_preload_offset 0
		.amdhsa_user_sgpr_private_segment_size 0
		.amdhsa_wavefront_size32 1
		.amdhsa_uses_dynamic_stack 0
		.amdhsa_enable_private_segment 0
		.amdhsa_system_sgpr_workgroup_id_x 1
		.amdhsa_system_sgpr_workgroup_id_y 0
		.amdhsa_system_sgpr_workgroup_id_z 0
		.amdhsa_system_sgpr_workgroup_info 0
		.amdhsa_system_vgpr_workitem_id 0
		.amdhsa_next_free_vgpr 8
		.amdhsa_next_free_sgpr 12
		.amdhsa_named_barrier_count 0
		.amdhsa_reserve_vcc 0
		.amdhsa_float_round_mode_32 0
		.amdhsa_float_round_mode_16_64 0
		.amdhsa_float_denorm_mode_32 3
		.amdhsa_float_denorm_mode_16_64 3
		.amdhsa_fp16_overflow 0
		.amdhsa_memory_ordered 1
		.amdhsa_forward_progress 1
		.amdhsa_inst_pref_size 7
		.amdhsa_round_robin_scheduling 0
		.amdhsa_exception_fp_ieee_invalid_op 0
		.amdhsa_exception_fp_denorm_src 0
		.amdhsa_exception_fp_ieee_div_zero 0
		.amdhsa_exception_fp_ieee_overflow 0
		.amdhsa_exception_fp_ieee_underflow 0
		.amdhsa_exception_fp_ieee_inexact 0
		.amdhsa_exception_int_div_zero 0
	.end_amdhsa_kernel
	.text
.Lfunc_end0:
	.size	_Z3addPKvPK15graph_control_tPKfPf, .Lfunc_end0-_Z3addPKvPK15graph_control_tPKfPf
                                        ; -- End function
	.set _Z3addPKvPK15graph_control_tPKfPf.num_vgpr, 8
	.set _Z3addPKvPK15graph_control_tPKfPf.num_agpr, 0
	.set _Z3addPKvPK15graph_control_tPKfPf.numbered_sgpr, 12
	.set _Z3addPKvPK15graph_control_tPKfPf.num_named_barrier, 0
	.set _Z3addPKvPK15graph_control_tPKfPf.private_seg_size, 0
	.set _Z3addPKvPK15graph_control_tPKfPf.uses_vcc, 0
	.set _Z3addPKvPK15graph_control_tPKfPf.uses_flat_scratch, 0
	.set _Z3addPKvPK15graph_control_tPKfPf.has_dyn_sized_stack, 0
	.set _Z3addPKvPK15graph_control_tPKfPf.has_recursion, 0
	.set _Z3addPKvPK15graph_control_tPKfPf.has_indirect_call, 0
	.section	.AMDGPU.csdata,"",@progbits
; Kernel info:
; codeLenInByte = 896
; TotalNumSgprs: 12
; NumVgprs: 8
; ScratchSize: 0
; MemoryBound: 0
; FloatMode: 240
; IeeeMode: 1
; LDSByteSize: 0 bytes/workgroup (compile time only)
; SGPRBlocks: 0
; VGPRBlocks: 0
; NumSGPRsForWavesPerEU: 12
; NumVGPRsForWavesPerEU: 8
; NamedBarCnt: 0
; Occupancy: 16
; WaveLimiterHint : 1
; COMPUTE_PGM_RSRC2:SCRATCH_EN: 0
; COMPUTE_PGM_RSRC2:USER_SGPR: 2
; COMPUTE_PGM_RSRC2:TRAP_HANDLER: 0
; COMPUTE_PGM_RSRC2:TGID_X_EN: 1
; COMPUTE_PGM_RSRC2:TGID_Y_EN: 0
; COMPUTE_PGM_RSRC2:TGID_Z_EN: 0
; COMPUTE_PGM_RSRC2:TIDIG_COMP_CNT: 0
	.text
	.p2alignl 7, 3214868480
	.fill 96, 4, 3214868480
	.section	.AMDGPU.gpr_maximums,"",@progbits
	.set amdgpu.max_num_vgpr, 0
	.set amdgpu.max_num_agpr, 0
	.set amdgpu.max_num_sgpr, 0
	.text
	.type	__hip_cuid_397954636b455b02,@object ; @__hip_cuid_397954636b455b02
	.section	.bss,"aw",@nobits
	.globl	__hip_cuid_397954636b455b02
__hip_cuid_397954636b455b02:
	.byte	0                               ; 0x0
	.size	__hip_cuid_397954636b455b02, 1

	.ident	"AMD clang version 22.0.0git (https://github.com/RadeonOpenCompute/llvm-project roc-7.2.4 26084 f58b06dce1f9c15707c5f808fd002e18c2accf7e)"
	.section	".note.GNU-stack","",@progbits
	.addrsig
	.addrsig_sym __hip_cuid_397954636b455b02
	.amdgpu_metadata
---
amdhsa.kernels:
  - .args:
      - .address_space:  global
        .offset:         0
        .size:           8
        .value_kind:     global_buffer
      - .address_space:  global
        .offset:         8
        .size:           8
        .value_kind:     global_buffer
      - .address_space:  global
        .offset:         16
        .size:           8
        .value_kind:     global_buffer
      - .address_space:  global
        .offset:         24
        .size:           8
        .value_kind:     global_buffer
    .group_segment_fixed_size: 0
    .kernarg_segment_align: 8
    .kernarg_segment_size: 32
    .language:       OpenCL C
    .language_version:
      - 2
      - 0
    .max_flat_workgroup_size: 1024
    .name:           _Z3addPKvPK15graph_control_tPKfPf
    .private_segment_fixed_size: 0
    .sgpr_count:     12
    .sgpr_spill_count: 0
    .symbol:         _Z3addPKvPK15graph_control_tPKfPf.kd
    .uniform_work_group_size: 1
    .uses_dynamic_stack: false
    .vgpr_count:     8
    .vgpr_spill_count: 0
    .wavefront_size: 32
amdhsa.target:   amdgcn-amd-amdhsa--gfx1250
amdhsa.version:
  - 1
  - 2
...

	.end_amdgpu_metadata
